;; amdgpu-corpus repo=zjin-lcf/HeCBench kind=compiled arch=gfx90a opt=O3
	.text
	.amdgcn_target "amdgcn-amd-amdhsa--gfx90a"
	.amdhsa_code_object_version 6
	.protected	_Z3lifmifPKfPfS1_ffS0_S0_S1_ ; -- Begin function _Z3lifmifPKfPfS1_ffS0_S0_S1_
	.globl	_Z3lifmifPKfPfS1_ffS0_S0_S1_
	.p2align	8
	.type	_Z3lifmifPKfPfS1_ffS0_S0_S1_,@function
_Z3lifmifPKfPfS1_ffS0_S0_S1_:           ; @_Z3lifmifPKfPfS1_ffS0_S0_S1_
; %bb.0:
	s_load_dword s2, s[4:5], 0x54
	s_load_dwordx2 s[0:1], s[4:5], 0x0
	v_mov_b32_e32 v2, 0
	v_mov_b32_e32 v1, v2
	;; [unrolled: 1-line block ×3, first 2 shown]
	s_waitcnt lgkmcnt(0)
	s_and_b32 s2, s2, 0xffff
	v_mad_u64_u32 v[0:1], s[2:3], s2, v3, v[0:1]
	v_cmp_gt_u64_e32 vcc, s[0:1], v[0:1]
	s_and_saveexec_b64 s[0:1], vcc
	s_cbranch_execz .LBB0_8
; %bb.1:
	s_load_dwordx8 s[8:15], s[4:5], 0x8
	s_load_dwordx4 s[16:19], s[4:5], 0x30
	s_waitcnt lgkmcnt(0)
	s_ashr_i32 s7, s8, 31
	v_or_b32_e32 v3, s7, v1
	s_mov_b32 s6, s8
	v_cmp_ne_u64_e32 vcc, 0, v[2:3]
                                        ; implicit-def: $vgpr2_vgpr3
	s_and_saveexec_b64 s[0:1], vcc
	s_xor_b64 s[2:3], exec, s[0:1]
	s_cbranch_execz .LBB0_3
; %bb.2:
	v_cvt_f32_u32_e32 v2, s6
	v_cvt_f32_u32_e32 v3, s7
	s_sub_u32 s0, 0, s6
	s_subb_u32 s1, 0, s7
	v_madmk_f32 v2, v3, 0x4f800000, v2
	v_rcp_f32_e32 v2, v2
	v_mul_f32_e32 v2, 0x5f7ffffc, v2
	v_mul_f32_e32 v3, 0x2f800000, v2
	v_trunc_f32_e32 v3, v3
	v_madmk_f32 v2, v3, 0xcf800000, v2
	v_cvt_u32_f32_e32 v3, v3
	v_cvt_u32_f32_e32 v2, v2
	v_mul_lo_u32 v4, s0, v3
	v_mul_hi_u32 v6, s0, v2
	v_mul_lo_u32 v5, s1, v2
	v_add_u32_e32 v4, v6, v4
	v_mul_lo_u32 v7, s0, v2
	v_add_u32_e32 v4, v4, v5
	v_mul_hi_u32 v6, v2, v7
	v_mul_lo_u32 v8, v2, v4
	v_mul_hi_u32 v5, v2, v4
	v_add_co_u32_e32 v6, vcc, v6, v8
	v_addc_co_u32_e32 v5, vcc, 0, v5, vcc
	v_mul_hi_u32 v9, v3, v7
	v_mul_lo_u32 v7, v3, v7
	v_add_co_u32_e32 v6, vcc, v6, v7
	v_mul_hi_u32 v8, v3, v4
	v_addc_co_u32_e32 v5, vcc, v5, v9, vcc
	v_addc_co_u32_e32 v6, vcc, 0, v8, vcc
	v_mul_lo_u32 v4, v3, v4
	v_add_co_u32_e32 v4, vcc, v5, v4
	v_addc_co_u32_e32 v5, vcc, 0, v6, vcc
	v_add_co_u32_e32 v2, vcc, v2, v4
	v_addc_co_u32_e32 v3, vcc, v3, v5, vcc
	v_mul_lo_u32 v4, s0, v3
	v_mul_hi_u32 v5, s0, v2
	v_add_u32_e32 v4, v5, v4
	v_mul_lo_u32 v5, s1, v2
	v_add_u32_e32 v4, v4, v5
	v_mul_lo_u32 v6, s0, v2
	v_mul_hi_u32 v7, v3, v6
	v_mul_lo_u32 v8, v3, v6
	v_mul_lo_u32 v10, v2, v4
	v_mul_hi_u32 v6, v2, v6
	v_mul_hi_u32 v9, v2, v4
	v_add_co_u32_e32 v6, vcc, v6, v10
	v_addc_co_u32_e32 v9, vcc, 0, v9, vcc
	v_add_co_u32_e32 v6, vcc, v6, v8
	v_mul_hi_u32 v5, v3, v4
	v_addc_co_u32_e32 v6, vcc, v9, v7, vcc
	v_addc_co_u32_e32 v5, vcc, 0, v5, vcc
	v_mul_lo_u32 v4, v3, v4
	v_add_co_u32_e32 v4, vcc, v6, v4
	v_addc_co_u32_e32 v5, vcc, 0, v5, vcc
	v_add_co_u32_e32 v4, vcc, v2, v4
	v_addc_co_u32_e32 v5, vcc, v3, v5, vcc
	v_mad_u64_u32 v[2:3], s[0:1], v0, v5, 0
	v_mul_hi_u32 v6, v0, v4
	v_add_co_u32_e32 v6, vcc, v6, v2
	v_addc_co_u32_e32 v7, vcc, 0, v3, vcc
	v_mad_u64_u32 v[2:3], s[0:1], v1, v5, 0
	v_mad_u64_u32 v[4:5], s[0:1], v1, v4, 0
	v_add_co_u32_e32 v4, vcc, v6, v4
	v_addc_co_u32_e32 v4, vcc, v7, v5, vcc
	v_addc_co_u32_e32 v3, vcc, 0, v3, vcc
	v_add_co_u32_e32 v4, vcc, v4, v2
	v_addc_co_u32_e32 v2, vcc, 0, v3, vcc
	v_mul_lo_u32 v5, s7, v4
	v_mul_lo_u32 v6, s6, v2
	v_mad_u64_u32 v[2:3], s[0:1], s6, v4, 0
	v_add3_u32 v3, v3, v6, v5
	v_sub_u32_e32 v5, v1, v3
	v_mov_b32_e32 v6, s7
	v_sub_co_u32_e32 v2, vcc, v0, v2
	v_subb_co_u32_e64 v5, s[0:1], v5, v6, vcc
	v_subrev_co_u32_e64 v6, s[0:1], s6, v2
	v_subbrev_co_u32_e64 v5, s[0:1], 0, v5, s[0:1]
	v_cmp_le_u32_e64 s[0:1], s7, v5
	v_subb_co_u32_e32 v3, vcc, v1, v3, vcc
	v_cndmask_b32_e64 v7, 0, -1, s[0:1]
	v_cmp_le_u32_e64 s[0:1], s6, v6
	v_cmp_le_u32_e32 vcc, s7, v3
	v_cndmask_b32_e64 v6, 0, -1, s[0:1]
	v_cmp_eq_u32_e64 s[0:1], s7, v5
	v_cndmask_b32_e64 v8, 0, -1, vcc
	v_cmp_le_u32_e32 vcc, s6, v2
	v_cndmask_b32_e64 v5, v7, v6, s[0:1]
	v_cndmask_b32_e64 v2, 0, -1, vcc
	v_cmp_eq_u32_e32 vcc, s7, v3
	v_add_co_u32_e64 v6, s[0:1], 2, v4
	v_add_co_u32_e64 v7, s[0:1], 1, v4
	v_cndmask_b32_e32 v2, v8, v2, vcc
	v_cmp_ne_u32_e32 vcc, 0, v5
	v_cndmask_b32_e32 v3, v7, v6, vcc
	v_cmp_ne_u32_e32 vcc, 0, v2
	v_cndmask_b32_e32 v2, v4, v3, vcc
.LBB0_3:
	s_or_saveexec_b64 s[2:3], s[2:3]
	s_load_dwordx2 s[0:1], s[4:5], 0x40
	s_xor_b64 exec, exec, s[2:3]
	s_cbranch_execz .LBB0_5
; %bb.4:
	v_cvt_f32_u32_e32 v2, s6
	s_sub_i32 s7, 0, s6
	v_rcp_iflag_f32_e32 v2, v2
	v_mul_f32_e32 v2, 0x4f7ffffe, v2
	v_cvt_u32_f32_e32 v2, v2
	v_mul_lo_u32 v3, s7, v2
	v_mul_hi_u32 v3, v2, v3
	v_add_u32_e32 v2, v2, v3
	v_mul_hi_u32 v2, v0, v2
	v_mul_lo_u32 v3, v2, s6
	v_sub_u32_e32 v3, v0, v3
	v_add_u32_e32 v4, 1, v2
	v_subrev_u32_e32 v5, s6, v3
	v_cmp_le_u32_e32 vcc, s6, v3
	v_cndmask_b32_e32 v3, v3, v5, vcc
	v_cndmask_b32_e32 v2, v2, v4, vcc
	v_add_u32_e32 v4, 1, v2
	v_cmp_le_u32_e32 vcc, s6, v3
	v_cndmask_b32_e32 v2, v2, v4, vcc
.LBB0_5:
	s_or_b64 exec, exec, s[2:3]
	v_mul_lo_u32 v3, v2, s6
	v_sub_u32_e32 v4, v0, v3
	v_ashrrev_i32_e32 v5, 31, v4
	v_lshlrev_b64 v[4:5], 2, v[4:5]
	v_mov_b32_e32 v3, s17
	v_add_co_u32_e32 v6, vcc, s16, v4
	v_addc_co_u32_e32 v7, vcc, v3, v5, vcc
	v_mov_b32_e32 v3, s19
	v_add_co_u32_e32 v4, vcc, s18, v4
	v_addc_co_u32_e32 v5, vcc, v3, v5, vcc
	global_load_dword v7, v[6:7], off
	v_lshlrev_b64 v[0:1], 2, v[0:1]
	global_load_dword v6, v[4:5], off
	v_mov_b32_e32 v4, 0
	v_mov_b32_e32 v5, v2
	v_ashrrev_i64 v[2:3], 30, v[4:5]
	v_mov_b32_e32 v4, s11
	v_add_co_u32_e32 v2, vcc, s10, v2
	v_addc_co_u32_e32 v3, vcc, v4, v3, vcc
	v_mov_b32_e32 v8, s13
	global_load_dword v9, v[2:3], off
	v_add_co_u32_e32 v2, vcc, s12, v0
	v_addc_co_u32_e32 v3, vcc, v8, v1, vcc
	global_load_dword v8, v[2:3], off
	v_mov_b32_e32 v5, s15
	v_add_co_u32_e32 v4, vcc, s14, v0
	v_addc_co_u32_e32 v5, vcc, v5, v1, vcc
	global_load_dword v10, v[4:5], off
	s_load_dwordx2 s[2:3], s[4:5], 0x28
	v_mov_b32_e32 v11, s9
	v_mov_b32_e32 v12, 0x3ab69700
	;; [unrolled: 1-line block ×4, first 2 shown]
	s_waitcnt lgkmcnt(0)
	v_div_scale_f32 v18, s[4:5], s2, s2, -v11
	v_rcp_f32_e32 v19, v18
	v_mov_b32_e32 v20, s2
	v_div_scale_f32 v20, vcc, -s9, v20, -s9
	v_fma_f32 v21, -v18, v19, 1.0
	v_fmac_f32_e32 v19, v21, v19
	v_mul_f32_e32 v21, v20, v19
	v_fma_f32 v22, -v18, v21, v20
	v_fmac_f32_e32 v21, v22, v19
	v_fma_f32 v18, -v18, v21, v20
	v_div_fmas_f32 v18, v18, v19, v21
	v_div_fixup_f32 v11, v18, s2, -v11
	v_mul_f32_e32 v18, 0x3fb8aa3b, v11
	v_mov_b32_e32 v19, v11
	v_rndne_f32_e32 v18, v18
	v_fmac_f32_e32 v19, 0xbf317218, v18
	v_fmac_f32_e32 v19, 0x3102e308, v18
	v_cvt_i32_f32_e32 v20, v18
	v_fmac_f32_e32 v12, 0x395133b1, v19
	v_fmac_f32_e32 v13, v19, v12
	v_mov_b32_e32 v15, 0x3e2aaaab
	s_mov_b32 s6, 0x43000000
	v_fmac_f32_e32 v14, v19, v13
	v_mov_b32_e32 v16, 0x7f
	v_cmp_eq_f32_e32 vcc, s6, v18
	v_fmac_f32_e32 v15, v19, v14
	v_cndmask_b32_e32 v12, v20, v16, vcc
	v_fma_f32 v13, v19, v15, 0.5
	v_ldexp_f32 v12, 1.0, v12
	v_mul_f32_e32 v13, v19, v13
	v_add_f32_e32 v14, -1.0, v12
	v_fmac_f32_e32 v19, v19, v13
	v_fmac_f32_e32 v14, v12, v19
	s_mov_b32 s7, 0x42b17217
	v_add_f32_e32 v12, v14, v14
	v_mov_b32_e32 v17, 0xff800000
	v_cndmask_b32_e32 v12, v14, v12, vcc
	v_cmp_nlt_f32_e32 vcc, s7, v11
	s_mov_b32 s2, 0xc1880000
	v_cndmask_b32_e64 v12, v17, -v12, vcc
	v_cmp_ngt_f32_e32 vcc, s2, v11
	v_div_scale_f32 v11, s[4:5], s9, s9, 1.0
	s_waitcnt vmcnt(2)
	v_fmac_f32_e32 v7, v6, v9
	v_cndmask_b32_e32 v6, 1.0, v12, vcc
	v_rcp_f32_e32 v12, v11
	s_waitcnt vmcnt(1)
	v_sub_f32_e32 v7, v7, v8
	v_fmac_f32_e32 v8, v6, v7
	v_max_f32_e32 v13, 0, v8
	v_fma_f32 v8, -v11, v12, 1.0
	v_fmac_f32_e32 v12, v8, v12
	v_div_scale_f32 v8, vcc, 1.0, s9, 1.0
	s_waitcnt vmcnt(0)
	v_subrev_f32_e32 v9, s9, v10
	v_mul_f32_e32 v10, v8, v12
	v_fma_f32 v14, -v11, v10, v8
	v_fmac_f32_e32 v10, v14, v12
	v_fma_f32 v8, -v11, v10, v8
	v_div_fmas_f32 v8, v8, v12, v10
	v_div_fixup_f32 v8, v8, s9, 1.0
	v_fma_f32 v10, -v8, v9, 1.0
	v_min_f32_e32 v10, 1.0, v10
	v_max_f32_e32 v10, 0, v10
	v_mul_f32_e32 v11, v10, v13
	v_cmp_lt_f32_e32 vcc, 1.0, v11
	v_mov_b32_e32 v10, 0
	s_and_saveexec_b64 s[4:5], vcc
	s_cbranch_execz .LBB0_7
; %bb.6:
	v_mul_f32_e32 v6, v6, v7
	v_add_f32_e32 v7, -1.0, v11
	v_div_scale_f32 v9, s[6:7], v6, v6, v7
	v_rcp_f32_e32 v10, v9
	v_fma_f32 v11, -v9, v10, 1.0
	v_fmac_f32_e32 v10, v11, v10
	v_div_scale_f32 v11, vcc, v7, v6, v7
	v_mul_f32_e32 v12, v11, v10
	v_fma_f32 v13, -v9, v12, v11
	v_fmac_f32_e32 v12, v13, v10
	v_fma_f32 v9, -v9, v12, v11
	v_div_fmas_f32 v9, v9, v10, v12
	v_div_fixup_f32 v6, v9, v6, v7
	v_sub_f32_e32 v6, 1.0, v6
	v_mov_b32_e32 v9, s3
	v_fmac_f32_e32 v9, s9, v6
	v_mov_b32_e32 v10, v8
	v_mov_b32_e32 v11, 0
.LBB0_7:
	s_or_b64 exec, exec, s[4:5]
	global_store_dword v[4:5], v9, off
	global_store_dword v[2:3], v11, off
	v_mov_b32_e32 v2, s1
	v_add_co_u32_e32 v0, vcc, s0, v0
	v_addc_co_u32_e32 v1, vcc, v2, v1, vcc
	global_store_dword v[0:1], v10, off
.LBB0_8:
	s_endpgm
	.section	.rodata,"a",@progbits
	.p2align	6, 0x0
	.amdhsa_kernel _Z3lifmifPKfPfS1_ffS0_S0_S1_
		.amdhsa_group_segment_fixed_size 0
		.amdhsa_private_segment_fixed_size 0
		.amdhsa_kernarg_size 328
		.amdhsa_user_sgpr_count 6
		.amdhsa_user_sgpr_private_segment_buffer 1
		.amdhsa_user_sgpr_dispatch_ptr 0
		.amdhsa_user_sgpr_queue_ptr 0
		.amdhsa_user_sgpr_kernarg_segment_ptr 1
		.amdhsa_user_sgpr_dispatch_id 0
		.amdhsa_user_sgpr_flat_scratch_init 0
		.amdhsa_user_sgpr_kernarg_preload_length 0
		.amdhsa_user_sgpr_kernarg_preload_offset 0
		.amdhsa_user_sgpr_private_segment_size 0
		.amdhsa_uses_dynamic_stack 0
		.amdhsa_system_sgpr_private_segment_wavefront_offset 0
		.amdhsa_system_sgpr_workgroup_id_x 1
		.amdhsa_system_sgpr_workgroup_id_y 0
		.amdhsa_system_sgpr_workgroup_id_z 0
		.amdhsa_system_sgpr_workgroup_info 0
		.amdhsa_system_vgpr_workitem_id 0
		.amdhsa_next_free_vgpr 23
		.amdhsa_next_free_sgpr 20
		.amdhsa_accum_offset 24
		.amdhsa_reserve_vcc 1
		.amdhsa_reserve_flat_scratch 0
		.amdhsa_float_round_mode_32 0
		.amdhsa_float_round_mode_16_64 0
		.amdhsa_float_denorm_mode_32 3
		.amdhsa_float_denorm_mode_16_64 3
		.amdhsa_dx10_clamp 1
		.amdhsa_ieee_mode 1
		.amdhsa_fp16_overflow 0
		.amdhsa_tg_split 0
		.amdhsa_exception_fp_ieee_invalid_op 0
		.amdhsa_exception_fp_denorm_src 0
		.amdhsa_exception_fp_ieee_div_zero 0
		.amdhsa_exception_fp_ieee_overflow 0
		.amdhsa_exception_fp_ieee_underflow 0
		.amdhsa_exception_fp_ieee_inexact 0
		.amdhsa_exception_int_div_zero 0
	.end_amdhsa_kernel
	.text
.Lfunc_end0:
	.size	_Z3lifmifPKfPfS1_ffS0_S0_S1_, .Lfunc_end0-_Z3lifmifPKfPfS1_ffS0_S0_S1_
                                        ; -- End function
	.section	.AMDGPU.csdata,"",@progbits
; Kernel info:
; codeLenInByte = 1528
; NumSgprs: 24
; NumVgprs: 23
; NumAgprs: 0
; TotalNumVgprs: 23
; ScratchSize: 0
; MemoryBound: 0
; FloatMode: 240
; IeeeMode: 1
; LDSByteSize: 0 bytes/workgroup (compile time only)
; SGPRBlocks: 2
; VGPRBlocks: 2
; NumSGPRsForWavesPerEU: 24
; NumVGPRsForWavesPerEU: 23
; AccumOffset: 24
; Occupancy: 8
; WaveLimiterHint : 0
; COMPUTE_PGM_RSRC2:SCRATCH_EN: 0
; COMPUTE_PGM_RSRC2:USER_SGPR: 6
; COMPUTE_PGM_RSRC2:TRAP_HANDLER: 0
; COMPUTE_PGM_RSRC2:TGID_X_EN: 1
; COMPUTE_PGM_RSRC2:TGID_Y_EN: 0
; COMPUTE_PGM_RSRC2:TGID_Z_EN: 0
; COMPUTE_PGM_RSRC2:TIDIG_COMP_CNT: 0
; COMPUTE_PGM_RSRC3_GFX90A:ACCUM_OFFSET: 5
; COMPUTE_PGM_RSRC3_GFX90A:TG_SPLIT: 0
	.text
	.p2alignl 6, 3212836864
	.fill 256, 4, 3212836864
	.type	__hip_cuid_91bea89fcab9c8f4,@object ; @__hip_cuid_91bea89fcab9c8f4
	.section	.bss,"aw",@nobits
	.globl	__hip_cuid_91bea89fcab9c8f4
__hip_cuid_91bea89fcab9c8f4:
	.byte	0                               ; 0x0
	.size	__hip_cuid_91bea89fcab9c8f4, 1

	.ident	"AMD clang version 19.0.0git (https://github.com/RadeonOpenCompute/llvm-project roc-6.4.0 25133 c7fe45cf4b819c5991fe208aaa96edf142730f1d)"
	.section	".note.GNU-stack","",@progbits
	.addrsig
	.addrsig_sym __hip_cuid_91bea89fcab9c8f4
	.amdgpu_metadata
---
amdhsa.kernels:
  - .agpr_count:     0
    .args:
      - .offset:         0
        .size:           8
        .value_kind:     by_value
      - .offset:         8
        .size:           4
        .value_kind:     by_value
      - .offset:         12
        .size:           4
        .value_kind:     by_value
      - .actual_access:  read_only
        .address_space:  global
        .offset:         16
        .size:           8
        .value_kind:     global_buffer
      - .address_space:  global
        .offset:         24
        .size:           8
        .value_kind:     global_buffer
      - .address_space:  global
        .offset:         32
        .size:           8
        .value_kind:     global_buffer
      - .offset:         40
        .size:           4
        .value_kind:     by_value
      - .offset:         44
        .size:           4
        .value_kind:     by_value
      - .actual_access:  read_only
        .address_space:  global
        .offset:         48
        .size:           8
        .value_kind:     global_buffer
      - .actual_access:  read_only
        .address_space:  global
        .offset:         56
        .size:           8
        .value_kind:     global_buffer
      - .actual_access:  write_only
        .address_space:  global
        .offset:         64
        .size:           8
        .value_kind:     global_buffer
      - .offset:         72
        .size:           4
        .value_kind:     hidden_block_count_x
      - .offset:         76
        .size:           4
        .value_kind:     hidden_block_count_y
      - .offset:         80
        .size:           4
        .value_kind:     hidden_block_count_z
      - .offset:         84
        .size:           2
        .value_kind:     hidden_group_size_x
      - .offset:         86
        .size:           2
        .value_kind:     hidden_group_size_y
      - .offset:         88
        .size:           2
        .value_kind:     hidden_group_size_z
      - .offset:         90
        .size:           2
        .value_kind:     hidden_remainder_x
      - .offset:         92
        .size:           2
        .value_kind:     hidden_remainder_y
      - .offset:         94
        .size:           2
        .value_kind:     hidden_remainder_z
      - .offset:         112
        .size:           8
        .value_kind:     hidden_global_offset_x
      - .offset:         120
        .size:           8
        .value_kind:     hidden_global_offset_y
      - .offset:         128
        .size:           8
        .value_kind:     hidden_global_offset_z
      - .offset:         136
        .size:           2
        .value_kind:     hidden_grid_dims
    .group_segment_fixed_size: 0
    .kernarg_segment_align: 8
    .kernarg_segment_size: 328
    .language:       OpenCL C
    .language_version:
      - 2
      - 0
    .max_flat_workgroup_size: 1024
    .name:           _Z3lifmifPKfPfS1_ffS0_S0_S1_
    .private_segment_fixed_size: 0
    .sgpr_count:     24
    .sgpr_spill_count: 0
    .symbol:         _Z3lifmifPKfPfS1_ffS0_S0_S1_.kd
    .uniform_work_group_size: 1
    .uses_dynamic_stack: false
    .vgpr_count:     23
    .vgpr_spill_count: 0
    .wavefront_size: 64
amdhsa.target:   amdgcn-amd-amdhsa--gfx90a
amdhsa.version:
  - 1
  - 2
...

	.end_amdgpu_metadata
